;; amdgpu-corpus repo=ROCm/rocFFT kind=compiled arch=gfx1030 opt=O3
	.text
	.amdgcn_target "amdgcn-amd-amdhsa--gfx1030"
	.amdhsa_code_object_version 6
	.protected	bluestein_single_back_len40_dim1_dp_op_CI_CI ; -- Begin function bluestein_single_back_len40_dim1_dp_op_CI_CI
	.globl	bluestein_single_back_len40_dim1_dp_op_CI_CI
	.p2align	8
	.type	bluestein_single_back_len40_dim1_dp_op_CI_CI,@function
bluestein_single_back_len40_dim1_dp_op_CI_CI: ; @bluestein_single_back_len40_dim1_dp_op_CI_CI
; %bb.0:
	s_load_dwordx4 s[0:3], s[4:5], 0x28
	v_mul_u32_u24_e32 v1, 0x199a, v0
	v_lshrrev_b32_e32 v1, 16, v1
	v_mad_u64_u32 v[52:53], null, s6, 12, v[1:2]
	v_mov_b32_e32 v53, 0
	s_waitcnt lgkmcnt(0)
	v_cmp_gt_u64_e32 vcc_lo, s[0:1], v[52:53]
	s_and_saveexec_b32 s0, vcc_lo
	s_cbranch_execz .LBB0_15
; %bb.1:
	v_mul_hi_u32 v2, 0xaaaaaaab, v52
	v_mul_lo_u16 v1, v1, 10
	s_clause 0x1
	s_load_dwordx2 s[12:13], s[4:5], 0x0
	s_load_dwordx2 s[6:7], s[4:5], 0x38
	v_sub_nc_u16 v0, v0, v1
	v_lshrrev_b32_e32 v2, 3, v2
	v_and_b32_e32 v57, 0xffff, v0
	v_cmp_gt_u16_e32 vcc_lo, 4, v0
	v_mul_lo_u32 v2, v2, 12
	v_lshlrev_b32_e32 v67, 4, v57
	v_or_b32_e32 v58, 4, v57
	v_or_b32_e32 v59, 8, v57
	;; [unrolled: 1-line block ×4, first 2 shown]
	v_sub_nc_u32_e32 v1, v52, v2
	v_or_b32_e32 v62, 20, v57
	v_or_b32_e32 v63, 24, v57
	;; [unrolled: 1-line block ×4, first 2 shown]
	v_mul_u32_u24_e32 v71, 40, v1
	v_or_b32_e32 v66, 36, v57
	v_or_b32_e32 v0, v71, v57
	v_add_lshl_u32 v69, v71, v57, 4
	v_lshlrev_b32_e32 v68, 4, v0
	s_and_saveexec_b32 s1, vcc_lo
	s_cbranch_execz .LBB0_3
; %bb.2:
	s_load_dwordx2 s[8:9], s[4:5], 0x18
	s_waitcnt lgkmcnt(0)
	s_load_dwordx4 s[8:11], s[8:9], 0x0
	s_clause 0x3
	global_load_dwordx4 v[0:3], v67, s[12:13]
	global_load_dwordx4 v[4:7], v67, s[12:13] offset:64
	global_load_dwordx4 v[8:11], v67, s[12:13] offset:128
	;; [unrolled: 1-line block ×3, first 2 shown]
	s_waitcnt lgkmcnt(0)
	v_mad_u64_u32 v[32:33], null, s8, v62, 0
	v_mad_u64_u32 v[20:21], null, s8, v58, 0
	;; [unrolled: 1-line block ×7, first 2 shown]
	v_mov_b32_e32 v28, v33
	v_mad_u64_u32 v[34:35], null, s9, v58, v[21:22]
	v_mad_u64_u32 v[35:36], null, s9, v59, v[23:24]
	;; [unrolled: 1-line block ×7, first 2 shown]
	v_mov_b32_e32 v17, v29
	v_mad_u64_u32 v[42:43], null, s8, v64, 0
	v_mov_b32_e32 v27, v37
	v_mov_b32_e32 v19, v30
	v_lshlrev_b64 v[16:17], 4, v[16:17]
	v_mov_b32_e32 v21, v34
	v_mov_b32_e32 v23, v35
	v_lshlrev_b64 v[34:35], 4, v[26:27]
	v_mov_b32_e32 v33, v41
	v_mad_u64_u32 v[38:39], null, s9, v62, v[28:29]
	v_lshlrev_b64 v[18:19], 4, v[18:19]
	v_mad_u64_u32 v[53:54], null, s8, v65, 0
	v_mad_u64_u32 v[76:77], null, s8, v66, 0
	v_add_co_u32 v70, s0, s2, v16
	v_mov_b32_e32 v25, v36
	v_mad_u64_u32 v[36:37], null, s9, v63, v[33:34]
	v_lshlrev_b64 v[20:21], 4, v[20:21]
	v_add_co_ci_u32_e64 v84, s0, s3, v17, s0
	v_mov_b32_e32 v37, v43
	v_lshlrev_b64 v[22:23], 4, v[22:23]
	v_add_co_u32 v18, s0, v70, v18
	v_add_co_ci_u32_e64 v19, s0, v84, v19, s0
	v_mad_u64_u32 v[46:47], null, s9, v64, v[37:38]
	v_mov_b32_e32 v49, v54
	v_mov_b32_e32 v50, v77
	v_lshlrev_b64 v[16:17], 4, v[24:25]
	v_add_co_u32 v20, s0, v70, v20
	v_mov_b32_e32 v33, v38
	v_add_co_ci_u32_e64 v21, s0, v84, v21, s0
	v_add_co_u32 v24, s0, v70, v22
	v_mov_b32_e32 v41, v36
	v_mad_u64_u32 v[54:55], null, s9, v65, v[49:50]
	v_add_co_ci_u32_e64 v25, s0, v84, v23, s0
	v_mad_u64_u32 v[55:56], null, s9, v66, v[50:51]
	v_add_co_u32 v28, s0, v70, v16
	v_lshlrev_b64 v[32:33], 4, v[32:33]
	v_mov_b32_e32 v43, v46
	v_add_co_ci_u32_e64 v29, s0, v84, v17, s0
	v_add_co_u32 v44, s0, v70, v34
	v_lshlrev_b64 v[40:41], 4, v[40:41]
	v_add_co_ci_u32_e64 v45, s0, v84, v35, s0
	v_add_co_u32 v47, s0, v70, v32
	v_lshlrev_b64 v[72:73], 4, v[42:43]
	v_mov_b32_e32 v77, v55
	v_add_co_ci_u32_e64 v48, s0, v84, v33, s0
	v_add_co_u32 v49, s0, v70, v40
	v_lshlrev_b64 v[78:79], 4, v[53:54]
	v_add_co_ci_u32_e64 v50, s0, v84, v41, s0
	v_add_co_u32 v80, s0, v70, v72
	v_lshlrev_b64 v[76:77], 4, v[76:77]
	v_add_co_ci_u32_e64 v81, s0, v84, v73, s0
	s_clause 0x3
	global_load_dwordx4 v[16:19], v[18:19], off
	global_load_dwordx4 v[20:23], v[20:21], off
	;; [unrolled: 1-line block ×4, first 2 shown]
	v_add_co_u32 v82, s0, v70, v78
	s_clause 0x1
	global_load_dwordx4 v[32:35], v67, s[12:13] offset:256
	global_load_dwordx4 v[36:39], v67, s[12:13] offset:320
	v_add_co_ci_u32_e64 v83, s0, v84, v79, s0
	s_clause 0x2
	global_load_dwordx4 v[40:43], v[44:45], off
	global_load_dwordx4 v[44:47], v[47:48], off
	;; [unrolled: 1-line block ×3, first 2 shown]
	v_add_co_u32 v92, s0, v70, v76
	s_clause 0x1
	global_load_dwordx4 v[53:56], v67, s[12:13] offset:384
	global_load_dwordx4 v[72:75], v67, s[12:13] offset:448
	v_add_co_ci_u32_e64 v93, s0, v84, v77, s0
	s_clause 0x1
	global_load_dwordx4 v[76:79], v[80:81], off
	global_load_dwordx4 v[80:83], v[82:83], off
	s_clause 0x1
	global_load_dwordx4 v[84:87], v67, s[12:13] offset:512
	global_load_dwordx4 v[88:91], v67, s[12:13] offset:576
	global_load_dwordx4 v[92:95], v[92:93], off
	s_waitcnt vmcnt(15)
	v_mul_f64 v[96:97], v[18:19], v[2:3]
	v_mul_f64 v[2:3], v[16:17], v[2:3]
	s_waitcnt vmcnt(14)
	v_mul_f64 v[98:99], v[22:23], v[6:7]
	v_mul_f64 v[6:7], v[20:21], v[6:7]
	;; [unrolled: 3-line block ×10, first 2 shown]
	v_fma_f64 v[14:15], v[16:17], v[0:1], v[96:97]
	v_fma_f64 v[16:17], v[18:19], v[0:1], -v[2:3]
	v_fma_f64 v[0:1], v[20:21], v[4:5], v[98:99]
	v_fma_f64 v[2:3], v[22:23], v[4:5], -v[6:7]
	;; [unrolled: 2-line block ×10, first 2 shown]
	v_lshl_add_u32 v12, v71, 4, v67
	ds_write_b128 v68, v[14:17]
	ds_write_b128 v69, v[0:3] offset:64
	ds_write_b128 v12, v[4:7] offset:128
	;; [unrolled: 1-line block ×9, first 2 shown]
.LBB0_3:
	s_or_b32 exec_lo, exec_lo, s1
	s_load_dwordx2 s[0:1], s[4:5], 0x20
	v_lshlrev_b32_e32 v70, 4, v71
	s_waitcnt lgkmcnt(0)
	s_barrier
	buffer_gl0_inv
                                        ; implicit-def: $vgpr26_vgpr27
                                        ; implicit-def: $vgpr22_vgpr23
                                        ; implicit-def: $vgpr34_vgpr35
                                        ; implicit-def: $vgpr6_vgpr7
                                        ; implicit-def: $vgpr8_vgpr9
                                        ; implicit-def: $vgpr28_vgpr29
                                        ; implicit-def: $vgpr0_vgpr1
                                        ; implicit-def: $vgpr12_vgpr13
                                        ; implicit-def: $vgpr16_vgpr17
                                        ; implicit-def: $vgpr36_vgpr37
	s_and_saveexec_b32 s2, vcc_lo
	s_cbranch_execz .LBB0_5
; %bb.4:
	v_lshl_add_u32 v12, v57, 4, v70
	ds_read_b128 v[4:7], v68
	ds_read_b128 v[36:39], v68 offset:64
	ds_read_b128 v[16:19], v12 offset:128
	;; [unrolled: 1-line block ×9, first 2 shown]
.LBB0_5:
	s_or_b32 exec_lo, exec_lo, s2
	s_waitcnt lgkmcnt(2)
	v_add_f64 v[40:41], v[24:25], v[28:29]
	v_add_f64 v[42:43], v[26:27], v[30:31]
	s_waitcnt lgkmcnt(0)
	v_add_f64 v[48:49], v[34:35], v[14:15]
	v_add_f64 v[50:51], v[32:33], v[12:13]
	;; [unrolled: 1-line block ×3, first 2 shown]
	v_add_f64 v[94:95], v[34:35], -v[14:15]
	v_add_f64 v[96:97], v[32:33], -v[12:13]
	;; [unrolled: 1-line block ×4, first 2 shown]
	s_mov_b32 s8, 0x134454ff
	s_mov_b32 s9, 0x3fee6f0e
	;; [unrolled: 1-line block ×4, first 2 shown]
	v_add_f64 v[44:45], v[4:5], v[16:17]
	v_add_f64 v[53:54], v[16:17], -v[20:21]
	v_add_f64 v[55:56], v[0:1], -v[8:9]
	v_add_f64 v[72:73], v[0:1], v[16:17]
	v_add_f64 v[74:75], v[20:21], -v[16:17]
	v_add_f64 v[76:77], v[8:9], -v[0:1]
	v_add_f64 v[78:79], v[6:7], v[18:19]
	v_add_f64 v[80:81], v[22:23], v[10:11]
	;; [unrolled: 1-line block ×3, first 2 shown]
	v_fma_f64 v[40:41], v[40:41], -0.5, v[36:37]
	v_fma_f64 v[42:43], v[42:43], -0.5, v[38:39]
	;; [unrolled: 1-line block ×4, first 2 shown]
	v_add_f64 v[84:85], v[18:19], -v[2:3]
	v_add_f64 v[88:89], v[32:33], -v[24:25]
	;; [unrolled: 1-line block ×3, first 2 shown]
	v_add_f64 v[36:37], v[32:33], v[36:37]
	v_add_f64 v[32:33], v[24:25], -v[32:33]
	v_add_f64 v[104:105], v[28:29], -v[12:13]
	v_add_f64 v[38:39], v[34:35], v[38:39]
	v_add_f64 v[106:107], v[34:35], -v[26:27]
	v_add_f64 v[34:35], v[26:27], -v[34:35]
	;; [unrolled: 1-line block ×3, first 2 shown]
	v_fma_f64 v[46:47], v[46:47], -0.5, v[4:5]
	v_add_f64 v[114:115], v[30:31], -v[14:15]
	s_mov_b32 s10, 0x4755a5e
	s_mov_b32 s11, 0x3fe2cf23
	;; [unrolled: 1-line block ×4, first 2 shown]
	v_add_f64 v[86:87], v[22:23], -v[10:11]
	v_add_f64 v[16:17], v[16:17], -v[0:1]
	v_fma_f64 v[110:111], v[94:95], s[2:3], v[40:41]
	v_fma_f64 v[112:113], v[96:97], s[2:3], v[42:43]
	;; [unrolled: 1-line block ×8, first 2 shown]
	v_add_f64 v[92:93], v[20:21], -v[8:9]
	v_add_f64 v[102:103], v[18:19], -v[22:23]
	v_add_f64 v[20:21], v[20:21], v[44:45]
	v_fma_f64 v[4:5], v[72:73], -0.5, v[4:5]
	v_add_f64 v[44:45], v[55:56], v[53:54]
	v_add_f64 v[53:54], v[76:77], v[74:75]
	v_fma_f64 v[55:56], v[84:85], s[8:9], v[46:47]
	v_fma_f64 v[46:47], v[84:85], s[2:3], v[46:47]
	v_fma_f64 v[72:73], v[80:81], -0.5, v[6:7]
	v_add_f64 v[74:75], v[22:23], v[78:79]
	v_fma_f64 v[6:7], v[82:83], -0.5, v[6:7]
	v_add_f64 v[76:77], v[88:89], v[90:91]
	v_add_f64 v[32:33], v[32:33], v[104:105]
	;; [unrolled: 1-line block ×3, first 2 shown]
	v_fma_f64 v[80:81], v[98:99], s[14:15], v[110:111]
	v_fma_f64 v[82:83], v[100:101], s[14:15], v[112:113]
	;; [unrolled: 1-line block ×3, first 2 shown]
	v_add_f64 v[34:35], v[34:35], v[114:115]
	v_fma_f64 v[88:89], v[96:97], s[14:15], v[116:117]
	v_fma_f64 v[90:91], v[94:95], s[14:15], v[118:119]
	v_add_f64 v[18:19], v[22:23], -v[18:19]
	v_fma_f64 v[22:23], v[98:99], s[10:11], v[40:41]
	v_fma_f64 v[40:41], v[94:95], s[10:11], v[50:51]
	;; [unrolled: 1-line block ×3, first 2 shown]
	s_mov_b32 s16, 0x372fe950
	s_mov_b32 s17, 0x3fd3c6ef
	v_add_f64 v[24:25], v[24:25], v[36:37]
	v_fma_f64 v[36:37], v[86:87], s[2:3], v[4:5]
	v_fma_f64 v[4:5], v[86:87], s[8:9], v[4:5]
	v_add_f64 v[26:27], v[26:27], v[38:39]
	v_fma_f64 v[38:39], v[86:87], s[10:11], v[55:56]
	v_fma_f64 v[46:47], v[86:87], s[14:15], v[46:47]
	;; [unrolled: 1-line block ×3, first 2 shown]
	v_add_f64 v[55:56], v[2:3], -v[10:11]
	v_fma_f64 v[72:73], v[16:17], s[8:9], v[72:73]
	v_fma_f64 v[86:87], v[92:93], s[8:9], v[6:7]
	v_add_f64 v[94:95], v[10:11], -v[2:3]
	v_fma_f64 v[80:81], v[76:77], s[16:17], v[80:81]
	v_fma_f64 v[96:97], v[78:79], s[16:17], v[42:43]
	;; [unrolled: 1-line block ×9, first 2 shown]
	s_mov_b32 s18, 0x9b97f4a8
	s_mov_b32 s19, 0x3fe9e377
	v_add_f64 v[8:9], v[8:9], v[20:21]
	v_fma_f64 v[20:21], v[84:85], s[10:11], v[36:37]
	v_fma_f64 v[36:37], v[84:85], s[14:15], v[4:5]
	v_add_f64 v[4:5], v[10:11], v[74:75]
	v_add_f64 v[10:11], v[28:29], v[24:25]
	;; [unrolled: 1-line block ×3, first 2 shown]
	v_fma_f64 v[26:27], v[92:93], s[14:15], v[50:51]
	v_add_f64 v[28:29], v[55:56], v[102:103]
	v_fma_f64 v[30:31], v[92:93], s[10:11], v[72:73]
	v_fma_f64 v[48:49], v[16:17], s[14:15], v[86:87]
	v_add_f64 v[18:19], v[94:95], v[18:19]
	v_mul_f64 v[50:51], v[80:81], s[18:19]
	v_mul_f64 v[55:56], v[96:97], s[18:19]
	v_mul_f64 v[72:73], v[78:79], s[10:11]
	v_mul_f64 v[74:75], v[82:83], s[8:9]
	v_mul_f64 v[76:77], v[88:89], s[16:17]
	v_fma_f64 v[16:17], v[16:17], s[10:11], v[6:7]
	v_mul_f64 v[84:85], v[22:23], s[14:15]
	v_mul_f64 v[86:87], v[32:33], s[2:3]
	;; [unrolled: 1-line block ×3, first 2 shown]
	s_barrier
	v_add_f64 v[0:1], v[0:1], v[8:9]
	v_fma_f64 v[6:7], v[53:54], s[16:17], v[20:21]
	v_fma_f64 v[8:9], v[53:54], s[16:17], v[36:37]
	v_add_f64 v[40:41], v[2:3], v[4:5]
	v_add_f64 v[2:3], v[12:13], v[10:11]
	;; [unrolled: 1-line block ×3, first 2 shown]
	v_fma_f64 v[4:5], v[44:45], s[16:17], v[38:39]
	v_fma_f64 v[14:15], v[44:45], s[16:17], v[46:47]
	;; [unrolled: 1-line block ×5, first 2 shown]
	v_fma_f64 v[28:29], v[96:97], s[10:11], -v[50:51]
	v_fma_f64 v[80:81], v[80:81], s[14:15], -v[55:56]
	v_fma_f64 v[10:11], v[22:23], s[18:19], v[72:73]
	v_fma_f64 v[36:37], v[32:33], s[16:17], v[74:75]
	v_fma_f64 v[38:39], v[34:35], s[8:9], -v[76:77]
	v_fma_f64 v[53:54], v[18:19], s[16:17], v[16:17]
	v_fma_f64 v[48:49], v[78:79], s[18:19], v[84:85]
	;; [unrolled: 1-line block ×3, first 2 shown]
	v_fma_f64 v[55:56], v[88:89], s[2:3], -v[90:91]
	s_load_dwordx2 s[2:3], s[4:5], 0x8
	v_mul_lo_u16 v72, v57, 10
	s_waitcnt lgkmcnt(0)
	buffer_gl0_inv
	v_add_f64 v[24:25], v[0:1], -v[2:3]
	v_add_f64 v[26:27], v[40:41], -v[42:43]
	v_add_f64 v[16:17], v[14:15], v[28:29]
	v_add_f64 v[18:19], v[30:31], v[80:81]
	v_add_f64 v[20:21], v[4:5], -v[10:11]
	v_add_f64 v[32:33], v[6:7], -v[36:37]
	v_add_f64 v[12:13], v[8:9], -v[38:39]
	v_add_f64 v[28:29], v[14:15], -v[28:29]
	v_add_f64 v[22:23], v[44:45], -v[48:49]
	v_add_f64 v[34:35], v[46:47], -v[50:51]
	v_add_f64 v[14:15], v[53:54], -v[55:56]
	v_add_f64 v[30:31], v[30:31], -v[80:81]
	s_and_saveexec_b32 s4, vcc_lo
	s_cbranch_execz .LBB0_7
; %bb.6:
	v_add_f64 v[42:43], v[40:41], v[42:43]
	v_add_f64 v[40:41], v[0:1], v[2:3]
	v_add_f64 v[46:47], v[46:47], v[50:51]
	v_add_f64 v[50:51], v[44:45], v[48:49]
	v_add_f64 v[48:49], v[4:5], v[10:11]
	v_add_f64 v[44:45], v[6:7], v[36:37]
	v_add_f64 v[55:56], v[53:54], v[55:56]
	v_add_f64 v[53:54], v[8:9], v[38:39]
	v_and_b32_e32 v0, 0xffff, v72
	v_add_lshl_u32 v0, v71, v0, 4
	ds_write_b128 v0, v[16:19] offset:64
	ds_write_b128 v0, v[24:27] offset:80
	;; [unrolled: 1-line block ×5, first 2 shown]
	ds_write_b128 v0, v[40:43]
	ds_write_b128 v0, v[48:51] offset:16
	ds_write_b128 v0, v[44:47] offset:32
	;; [unrolled: 1-line block ×4, first 2 shown]
.LBB0_7:
	s_or_b32 exec_lo, exec_lo, s4
	v_mad_u64_u32 v[0:1], null, v57, 48, s[2:3]
	s_load_dwordx4 s[0:3], s[0:1], 0x0
	s_waitcnt lgkmcnt(0)
	s_barrier
	buffer_gl0_inv
	s_clause 0x2
	global_load_dwordx4 v[8:11], v[0:1], off
	global_load_dwordx4 v[4:7], v[0:1], off offset:16
	global_load_dwordx4 v[0:3], v[0:1], off offset:32
	ds_read_b128 v[36:39], v69 offset:160
	ds_read_b128 v[40:43], v69 offset:320
	ds_read_b128 v[44:47], v69 offset:480
	ds_read_b128 v[48:51], v69
	s_waitcnt vmcnt(2) lgkmcnt(3)
	v_mul_f64 v[53:54], v[38:39], v[10:11]
	v_mul_f64 v[55:56], v[36:37], v[10:11]
	s_waitcnt vmcnt(1) lgkmcnt(2)
	v_mul_f64 v[73:74], v[42:43], v[6:7]
	v_mul_f64 v[75:76], v[40:41], v[6:7]
	;; [unrolled: 3-line block ×3, first 2 shown]
	v_fma_f64 v[36:37], v[36:37], v[8:9], -v[53:54]
	v_fma_f64 v[38:39], v[38:39], v[8:9], v[55:56]
	v_fma_f64 v[40:41], v[40:41], v[4:5], -v[73:74]
	v_fma_f64 v[42:43], v[42:43], v[4:5], v[75:76]
	;; [unrolled: 2-line block ×3, first 2 shown]
	s_waitcnt lgkmcnt(0)
	v_add_f64 v[40:41], v[48:49], -v[40:41]
	v_add_f64 v[42:43], v[50:51], -v[42:43]
	;; [unrolled: 1-line block ×4, first 2 shown]
	v_fma_f64 v[53:54], v[48:49], 2.0, -v[40:41]
	v_fma_f64 v[55:56], v[50:51], 2.0, -v[42:43]
	;; [unrolled: 1-line block ×4, first 2 shown]
	v_add_f64 v[48:49], v[40:41], -v[46:47]
	v_add_f64 v[50:51], v[42:43], v[44:45]
	v_add_f64 v[44:45], v[53:54], -v[36:37]
	v_add_f64 v[46:47], v[55:56], -v[38:39]
	v_fma_f64 v[40:41], v[40:41], 2.0, -v[48:49]
	v_fma_f64 v[42:43], v[42:43], 2.0, -v[50:51]
	;; [unrolled: 1-line block ×4, first 2 shown]
	v_lshl_add_u32 v53, v57, 4, v70
	ds_write_b128 v53, v[48:51] offset:480
	ds_write_b128 v53, v[40:43] offset:160
	;; [unrolled: 1-line block ×3, first 2 shown]
	ds_write_b128 v53, v[36:39]
	s_waitcnt lgkmcnt(0)
	s_barrier
	buffer_gl0_inv
	s_and_saveexec_b32 s8, vcc_lo
	s_cbranch_execz .LBB0_9
; %bb.8:
	global_load_dwordx4 v[73:76], v67, s[12:13] offset:640
	s_add_u32 s4, s12, 0x280
	s_addc_u32 s5, s13, 0
	s_clause 0x8
	global_load_dwordx4 v[77:80], v67, s[4:5] offset:64
	global_load_dwordx4 v[81:84], v67, s[4:5] offset:128
	;; [unrolled: 1-line block ×9, first 2 shown]
	ds_read_b128 v[113:116], v68
	s_waitcnt vmcnt(9) lgkmcnt(0)
	v_mul_f64 v[54:55], v[115:116], v[75:76]
	v_mul_f64 v[75:76], v[113:114], v[75:76]
	v_fma_f64 v[113:114], v[113:114], v[73:74], -v[54:55]
	v_fma_f64 v[115:116], v[115:116], v[73:74], v[75:76]
	ds_write_b128 v68, v[113:116]
	ds_read_b128 v[73:76], v69 offset:64
	s_waitcnt vmcnt(8) lgkmcnt(0)
	v_mul_f64 v[54:55], v[75:76], v[79:80]
	v_mul_f64 v[79:80], v[73:74], v[79:80]
	v_fma_f64 v[73:74], v[73:74], v[77:78], -v[54:55]
	v_fma_f64 v[75:76], v[75:76], v[77:78], v[79:80]
	ds_write_b128 v69, v[73:76] offset:64
	ds_read_b128 v[73:76], v53 offset:128
	ds_read_b128 v[77:80], v53 offset:192
	;; [unrolled: 1-line block ×8, first 2 shown]
	s_waitcnt vmcnt(7) lgkmcnt(7)
	v_mul_f64 v[54:55], v[75:76], v[83:84]
	v_mul_f64 v[83:84], v[73:74], v[83:84]
	s_waitcnt vmcnt(6) lgkmcnt(6)
	v_mul_f64 v[137:138], v[79:80], v[87:88]
	v_mul_f64 v[87:88], v[77:78], v[87:88]
	;; [unrolled: 3-line block ×8, first 2 shown]
	v_fma_f64 v[73:74], v[73:74], v[81:82], -v[54:55]
	v_fma_f64 v[75:76], v[75:76], v[81:82], v[83:84]
	v_fma_f64 v[77:78], v[77:78], v[85:86], -v[137:138]
	v_fma_f64 v[79:80], v[79:80], v[85:86], v[87:88]
	;; [unrolled: 2-line block ×8, first 2 shown]
	ds_write_b128 v53, v[73:76] offset:128
	ds_write_b128 v53, v[77:80] offset:192
	;; [unrolled: 1-line block ×8, first 2 shown]
.LBB0_9:
	s_or_b32 exec_lo, exec_lo, s8
	s_waitcnt lgkmcnt(0)
	s_barrier
	buffer_gl0_inv
	s_and_saveexec_b32 s4, vcc_lo
	s_cbranch_execz .LBB0_11
; %bb.10:
	ds_read_b128 v[36:39], v68
	ds_read_b128 v[40:43], v68 offset:64
	ds_read_b128 v[44:47], v53 offset:128
	;; [unrolled: 1-line block ×9, first 2 shown]
.LBB0_11:
	s_or_b32 exec_lo, exec_lo, s4
	s_waitcnt lgkmcnt(0)
	s_barrier
	buffer_gl0_inv
	s_and_saveexec_b32 s24, vcc_lo
	s_cbranch_execz .LBB0_13
; %bb.12:
	v_add_f64 v[54:55], v[26:27], v[34:35]
	v_add_f64 v[73:74], v[50:51], v[30:31]
	;; [unrolled: 1-line block ×3, first 2 shown]
	v_add_f64 v[93:94], v[48:49], -v[28:29]
	v_add_f64 v[95:96], v[48:49], v[28:29]
	v_add_f64 v[97:98], v[24:25], -v[32:33]
	s_mov_b32 s10, 0x134454ff
	s_mov_b32 s11, 0xbfee6f0e
	;; [unrolled: 1-line block ×4, first 2 shown]
	v_add_f64 v[79:80], v[18:19], v[22:23]
	v_add_f64 v[91:92], v[50:51], -v[30:31]
	v_add_f64 v[99:100], v[26:27], -v[34:35]
	;; [unrolled: 1-line block ×4, first 2 shown]
	v_add_f64 v[109:110], v[14:15], v[46:47]
	v_add_f64 v[115:116], v[26:27], -v[50:51]
	v_add_f64 v[117:118], v[34:35], -v[30:31]
	v_add_f64 v[119:120], v[38:39], v[46:47]
	v_add_f64 v[127:128], v[16:17], v[20:21]
	;; [unrolled: 1-line block ×3, first 2 shown]
	s_mov_b32 s14, 0x4755a5e
	v_fma_f64 v[54:55], v[54:55], -0.5, v[42:43]
	v_fma_f64 v[73:74], v[73:74], -0.5, v[42:43]
	;; [unrolled: 1-line block ×3, first 2 shown]
	v_add_f64 v[81:82], v[44:45], -v[12:13]
	v_fma_f64 v[95:96], v[95:96], -0.5, v[40:41]
	s_mov_b32 s15, 0xbfe2cf23
	s_mov_b32 s19, 0x3fe2cf23
	v_add_f64 v[42:43], v[50:51], v[42:43]
	v_add_f64 v[50:51], v[44:45], -v[16:17]
	v_add_f64 v[133:134], v[16:17], -v[44:45]
	v_add_f64 v[44:45], v[36:37], v[44:45]
	v_add_f64 v[40:41], v[48:49], v[40:41]
	s_mov_b32 s18, s14
	v_add_f64 v[75:76], v[46:47], -v[18:19]
	v_add_f64 v[77:78], v[14:15], -v[22:23]
	;; [unrolled: 1-line block ×9, first 2 shown]
	v_fma_f64 v[121:122], v[93:94], s[10:11], v[54:55]
	v_fma_f64 v[123:124], v[97:98], s[16:17], v[73:74]
	;; [unrolled: 1-line block ×4, first 2 shown]
	v_add_f64 v[131:132], v[18:19], -v[22:23]
	v_fma_f64 v[48:49], v[79:80], -0.5, v[38:39]
	v_fma_f64 v[38:39], v[109:110], -0.5, v[38:39]
	v_add_f64 v[79:80], v[101:102], v[103:104]
	v_add_f64 v[101:102], v[115:116], v[117:118]
	v_fma_f64 v[103:104], v[91:92], s[16:17], v[89:90]
	v_fma_f64 v[109:110], v[99:100], s[10:11], v[95:96]
	;; [unrolled: 1-line block ×4, first 2 shown]
	v_add_f64 v[18:19], v[18:19], v[119:120]
	s_mov_b32 s4, 0x372fe950
	s_mov_b32 s5, 0x3fd3c6ef
	v_add_f64 v[26:27], v[26:27], v[42:43]
	v_add_f64 v[16:17], v[16:17], v[44:45]
	;; [unrolled: 1-line block ×3, first 2 shown]
	v_add_f64 v[107:108], v[22:23], -v[14:15]
	v_add_f64 v[125:126], v[12:13], -v[20:21]
	v_add_f64 v[85:86], v[85:86], v[87:88]
	v_fma_f64 v[115:116], v[97:98], s[14:15], v[121:122]
	v_fma_f64 v[117:118], v[93:94], s[14:15], v[123:124]
	;; [unrolled: 1-line block ×4, first 2 shown]
	v_fma_f64 v[97:98], v[127:128], -0.5, v[36:37]
	v_fma_f64 v[36:37], v[129:130], -0.5, v[36:37]
	v_add_f64 v[93:94], v[20:21], -v[12:13]
	v_add_f64 v[87:88], v[111:112], v[113:114]
	v_fma_f64 v[40:41], v[81:82], s[10:11], v[48:49]
	v_fma_f64 v[42:43], v[83:84], s[16:17], v[38:39]
	;; [unrolled: 1-line block ×7, first 2 shown]
	v_add_f64 v[75:76], v[77:78], v[75:76]
	v_fma_f64 v[77:78], v[99:100], s[14:15], v[89:90]
	v_add_f64 v[18:19], v[22:23], v[18:19]
	s_mov_b32 s8, 0x9b97f4a8
	s_mov_b32 s9, 0xbfe9e377
	;; [unrolled: 1-line block ×4, first 2 shown]
	v_fma_f64 v[95:96], v[79:80], s[4:5], v[115:116]
	v_fma_f64 v[109:110], v[101:102], s[4:5], v[117:118]
	;; [unrolled: 1-line block ×8, first 2 shown]
	s_mov_b32 s20, s4
	v_add_f64 v[26:27], v[34:35], v[26:27]
	v_add_f64 v[16:17], v[20:21], v[16:17]
	;; [unrolled: 1-line block ×3, first 2 shown]
	s_mov_b32 s22, s8
	v_add_f64 v[79:80], v[107:108], v[105:106]
	v_fma_f64 v[24:25], v[83:84], s[14:15], v[40:41]
	v_fma_f64 v[32:33], v[81:82], s[14:15], v[42:43]
	;; [unrolled: 1-line block ×8, first 2 shown]
	v_mul_f64 v[48:49], v[95:96], s[8:9]
	v_mul_f64 v[81:82], v[109:110], s[20:21]
	;; [unrolled: 1-line block ×4, first 2 shown]
	v_add_f64 v[50:51], v[125:126], v[50:51]
	v_fma_f64 v[87:88], v[131:132], s[18:19], v[89:90]
	v_add_f64 v[89:90], v[93:94], v[133:134]
	v_fma_f64 v[22:23], v[46:47], s[18:19], v[22:23]
	v_fma_f64 v[36:37], v[46:47], s[14:15], v[36:37]
	v_fma_f64 v[46:47], v[131:132], s[14:15], v[97:98]
	v_mul_f64 v[54:55], v[54:55], s[14:15]
	v_mul_f64 v[73:74], v[73:74], s[10:11]
	v_mul_f64 v[91:92], v[109:110], s[10:11]
	v_mul_f64 v[93:94], v[95:96], s[14:15]
	v_add_f64 v[18:19], v[14:15], v[18:19]
	v_add_f64 v[26:27], v[30:31], v[26:27]
	;; [unrolled: 1-line block ×4, first 2 shown]
	v_fma_f64 v[24:25], v[75:76], s[4:5], v[24:25]
	v_fma_f64 v[28:29], v[79:80], s[4:5], v[32:33]
	v_fma_f64 v[32:33], v[79:80], s[4:5], v[34:35]
	v_fma_f64 v[75:76], v[75:76], s[4:5], v[38:39]
	v_fma_f64 v[38:39], v[40:41], s[18:19], v[48:49]
	v_fma_f64 v[48:49], v[42:43], s[16:17], v[81:82]
	v_fma_f64 v[79:80], v[44:45], s[16:17], v[83:84]
	v_fma_f64 v[81:82], v[77:78], s[18:19], v[85:86]
	v_fma_f64 v[83:84], v[50:51], s[4:5], v[87:88]
	v_fma_f64 v[85:86], v[89:90], s[4:5], v[22:23]
	v_fma_f64 v[87:88], v[89:90], s[4:5], v[36:37]
	v_fma_f64 v[89:90], v[50:51], s[4:5], v[46:47]
	v_fma_f64 v[54:55], v[77:78], s[22:23], v[54:55]
	v_fma_f64 v[73:74], v[44:45], s[4:5], v[73:74]
	v_fma_f64 v[77:78], v[42:43], s[20:21], v[91:92]
	v_fma_f64 v[91:92], v[40:41], s[8:9], v[93:94]
	v_add_f64 v[14:15], v[18:19], -v[26:27]
	v_add_f64 v[18:19], v[18:19], v[26:27]
	v_add_f64 v[12:13], v[16:17], -v[20:21]
	v_add_f64 v[16:17], v[16:17], v[20:21]
	v_add_f64 v[22:23], v[24:25], -v[38:39]
	v_add_f64 v[26:27], v[28:29], -v[48:49]
	v_add_f64 v[42:43], v[28:29], v[48:49]
	v_add_f64 v[50:51], v[75:76], v[81:82]
	;; [unrolled: 1-line block ×4, first 2 shown]
	v_add_f64 v[30:31], v[32:33], -v[79:80]
	v_add_f64 v[34:35], v[75:76], -v[81:82]
	v_add_f64 v[48:49], v[89:90], v[54:55]
	v_add_f64 v[44:45], v[87:88], v[73:74]
	;; [unrolled: 1-line block ×4, first 2 shown]
	v_add_f64 v[32:33], v[89:90], -v[54:55]
	v_add_f64 v[28:29], v[87:88], -v[73:74]
	;; [unrolled: 1-line block ×4, first 2 shown]
	v_and_b32_e32 v54, 0xffff, v72
	v_lshl_add_u32 v54, v54, 4, v70
	ds_write_b128 v54, v[16:19]
	ds_write_b128 v54, v[12:15] offset:80
	ds_write_b128 v54, v[48:51] offset:16
	;; [unrolled: 1-line block ×9, first 2 shown]
.LBB0_13:
	s_or_b32 exec_lo, exec_lo, s24
	s_waitcnt lgkmcnt(0)
	s_barrier
	buffer_gl0_inv
	ds_read_b128 v[12:15], v69 offset:160
	ds_read_b128 v[16:19], v69 offset:320
	ds_read_b128 v[20:23], v69 offset:480
	ds_read_b128 v[24:27], v69
	s_waitcnt lgkmcnt(3)
	v_mul_f64 v[28:29], v[10:11], v[14:15]
	v_mul_f64 v[10:11], v[10:11], v[12:13]
	s_waitcnt lgkmcnt(2)
	v_mul_f64 v[30:31], v[6:7], v[18:19]
	v_mul_f64 v[6:7], v[6:7], v[16:17]
	;; [unrolled: 3-line block ×3, first 2 shown]
	v_fma_f64 v[12:13], v[8:9], v[12:13], v[28:29]
	v_fma_f64 v[8:9], v[8:9], v[14:15], -v[10:11]
	v_fma_f64 v[10:11], v[4:5], v[16:17], v[30:31]
	v_fma_f64 v[4:5], v[4:5], v[18:19], -v[6:7]
	;; [unrolled: 2-line block ×3, first 2 shown]
	s_waitcnt lgkmcnt(0)
	v_add_f64 v[10:11], v[24:25], -v[10:11]
	v_add_f64 v[14:15], v[26:27], -v[4:5]
	;; [unrolled: 1-line block ×4, first 2 shown]
	v_fma_f64 v[16:17], v[24:25], 2.0, -v[10:11]
	v_fma_f64 v[18:19], v[26:27], 2.0, -v[14:15]
	;; [unrolled: 1-line block ×4, first 2 shown]
	v_add_f64 v[0:1], v[10:11], v[0:1]
	v_add_f64 v[2:3], v[14:15], -v[2:3]
	v_add_f64 v[4:5], v[16:17], -v[4:5]
	;; [unrolled: 1-line block ×3, first 2 shown]
	v_fma_f64 v[8:9], v[10:11], 2.0, -v[0:1]
	v_fma_f64 v[10:11], v[14:15], 2.0, -v[2:3]
	v_fma_f64 v[12:13], v[16:17], 2.0, -v[4:5]
	v_fma_f64 v[14:15], v[18:19], 2.0, -v[6:7]
	ds_write_b128 v53, v[0:3] offset:480
	ds_write_b128 v53, v[8:11] offset:160
	;; [unrolled: 1-line block ×3, first 2 shown]
	ds_write_b128 v53, v[12:15]
	s_waitcnt lgkmcnt(0)
	s_barrier
	buffer_gl0_inv
	s_and_b32 exec_lo, exec_lo, vcc_lo
	s_cbranch_execz .LBB0_15
; %bb.14:
	s_clause 0x9
	global_load_dwordx4 v[0:3], v67, s[12:13]
	global_load_dwordx4 v[4:7], v67, s[12:13] offset:64
	global_load_dwordx4 v[8:11], v67, s[12:13] offset:128
	;; [unrolled: 1-line block ×9, first 2 shown]
	v_mad_u64_u32 v[91:92], null, s2, v52, 0
	v_mad_u64_u32 v[93:94], null, s0, v57, 0
	;; [unrolled: 1-line block ×7, first 2 shown]
	ds_read_b128 v[40:43], v68
	v_mad_u64_u32 v[105:106], null, s0, v63, 0
	v_mad_u64_u32 v[107:108], null, s0, v64, 0
	ds_read_b128 v[44:47], v53 offset:64
	ds_read_b128 v[48:51], v53 offset:128
	v_mad_u64_u32 v[109:110], null, s0, v65, 0
	v_mad_u64_u32 v[111:112], null, s0, v66, 0
	v_mad_u64_u32 v[113:114], null, s3, v52, v[92:93]
	ds_read_b128 v[67:70], v53 offset:192
	ds_read_b128 v[71:74], v53 offset:256
	v_mad_u64_u32 v[114:115], null, s1, v57, v[94:95]
	;; [unrolled: 5-line block ×3, first 2 shown]
	v_mad_u64_u32 v[60:61], null, s1, v61, v[102:103]
	ds_read_b128 v[83:86], v53 offset:448
	ds_read_b128 v[87:90], v53 offset:512
	v_mad_u64_u32 v[61:62], null, s1, v62, v[104:105]
	ds_read_b128 v[53:56], v53 offset:576
	v_mad_u64_u32 v[62:63], null, s1, v63, v[106:107]
	v_mad_u64_u32 v[63:64], null, s1, v64, v[108:109]
	;; [unrolled: 1-line block ×4, first 2 shown]
	v_mov_b32_e32 v92, v113
	v_mov_b32_e32 v102, v60
	;; [unrolled: 1-line block ×7, first 2 shown]
	v_lshlrev_b64 v[57:58], 4, v[91:92]
	v_mov_b32_e32 v108, v63
	v_mov_b32_e32 v100, v59
	;; [unrolled: 1-line block ×4, first 2 shown]
	v_lshlrev_b64 v[91:92], 4, v[101:102]
	v_lshlrev_b64 v[59:60], 4, v[93:94]
	;; [unrolled: 1-line block ×7, first 2 shown]
	v_add_co_u32 v121, vcc_lo, s6, v57
	v_lshlrev_b64 v[65:66], 4, v[99:100]
	v_lshlrev_b64 v[99:100], 4, v[109:110]
	v_add_co_ci_u32_e32 v122, vcc_lo, s7, v58, vcc_lo
	v_lshlrev_b64 v[57:58], 4, v[111:112]
	v_add_co_u32 v59, vcc_lo, v121, v59
	v_add_co_ci_u32_e32 v60, vcc_lo, v122, v60, vcc_lo
	v_add_co_u32 v61, vcc_lo, v121, v61
	s_mov_b32 s4, 0x9999999a
	s_mov_b32 s5, 0x3f999999
	v_add_co_ci_u32_e32 v62, vcc_lo, v122, v62, vcc_lo
	v_add_co_u32 v63, vcc_lo, v121, v63
	v_add_co_ci_u32_e32 v64, vcc_lo, v122, v64, vcc_lo
	v_add_co_u32 v65, vcc_lo, v121, v65
	;; [unrolled: 2-line block ×4, first 2 shown]
	v_add_co_ci_u32_e32 v94, vcc_lo, v122, v94, vcc_lo
	s_waitcnt vmcnt(9) lgkmcnt(9)
	v_mul_f64 v[101:102], v[42:43], v[2:3]
	v_mul_f64 v[2:3], v[40:41], v[2:3]
	s_waitcnt vmcnt(8) lgkmcnt(8)
	v_mul_f64 v[103:104], v[46:47], v[6:7]
	v_mul_f64 v[6:7], v[44:45], v[6:7]
	;; [unrolled: 3-line block ×10, first 2 shown]
	v_fma_f64 v[40:41], v[40:41], v[0:1], v[101:102]
	v_fma_f64 v[2:3], v[0:1], v[42:43], -v[2:3]
	v_fma_f64 v[42:43], v[44:45], v[4:5], v[103:104]
	v_fma_f64 v[6:7], v[4:5], v[46:47], -v[6:7]
	;; [unrolled: 2-line block ×10, first 2 shown]
	v_add_co_u32 v54, vcc_lo, v121, v95
	v_mul_f64 v[0:1], v[40:41], s[4:5]
	v_mul_f64 v[2:3], v[2:3], s[4:5]
	;; [unrolled: 1-line block ×20, first 2 shown]
	v_add_co_ci_u32_e32 v55, vcc_lo, v122, v96, vcc_lo
	v_add_co_u32 v40, vcc_lo, v121, v97
	v_add_co_ci_u32_e32 v41, vcc_lo, v122, v98, vcc_lo
	v_add_co_u32 v42, vcc_lo, v121, v99
	;; [unrolled: 2-line block ×3, first 2 shown]
	v_add_co_ci_u32_e32 v45, vcc_lo, v122, v58, vcc_lo
	global_store_dwordx4 v[59:60], v[0:3], off
	global_store_dwordx4 v[61:62], v[4:7], off
	global_store_dwordx4 v[63:64], v[8:11], off
	global_store_dwordx4 v[65:66], v[12:15], off
	global_store_dwordx4 v[91:92], v[16:19], off
	global_store_dwordx4 v[93:94], v[20:23], off
	global_store_dwordx4 v[54:55], v[24:27], off
	global_store_dwordx4 v[40:41], v[28:31], off
	global_store_dwordx4 v[42:43], v[32:35], off
	global_store_dwordx4 v[44:45], v[36:39], off
.LBB0_15:
	s_endpgm
	.section	.rodata,"a",@progbits
	.p2align	6, 0x0
	.amdhsa_kernel bluestein_single_back_len40_dim1_dp_op_CI_CI
		.amdhsa_group_segment_fixed_size 7680
		.amdhsa_private_segment_fixed_size 0
		.amdhsa_kernarg_size 104
		.amdhsa_user_sgpr_count 6
		.amdhsa_user_sgpr_private_segment_buffer 1
		.amdhsa_user_sgpr_dispatch_ptr 0
		.amdhsa_user_sgpr_queue_ptr 0
		.amdhsa_user_sgpr_kernarg_segment_ptr 1
		.amdhsa_user_sgpr_dispatch_id 0
		.amdhsa_user_sgpr_flat_scratch_init 0
		.amdhsa_user_sgpr_private_segment_size 0
		.amdhsa_wavefront_size32 1
		.amdhsa_uses_dynamic_stack 0
		.amdhsa_system_sgpr_private_segment_wavefront_offset 0
		.amdhsa_system_sgpr_workgroup_id_x 1
		.amdhsa_system_sgpr_workgroup_id_y 0
		.amdhsa_system_sgpr_workgroup_id_z 0
		.amdhsa_system_sgpr_workgroup_info 0
		.amdhsa_system_vgpr_workitem_id 0
		.amdhsa_next_free_vgpr 151
		.amdhsa_next_free_sgpr 25
		.amdhsa_reserve_vcc 1
		.amdhsa_reserve_flat_scratch 0
		.amdhsa_float_round_mode_32 0
		.amdhsa_float_round_mode_16_64 0
		.amdhsa_float_denorm_mode_32 3
		.amdhsa_float_denorm_mode_16_64 3
		.amdhsa_dx10_clamp 1
		.amdhsa_ieee_mode 1
		.amdhsa_fp16_overflow 0
		.amdhsa_workgroup_processor_mode 1
		.amdhsa_memory_ordered 1
		.amdhsa_forward_progress 0
		.amdhsa_shared_vgpr_count 0
		.amdhsa_exception_fp_ieee_invalid_op 0
		.amdhsa_exception_fp_denorm_src 0
		.amdhsa_exception_fp_ieee_div_zero 0
		.amdhsa_exception_fp_ieee_overflow 0
		.amdhsa_exception_fp_ieee_underflow 0
		.amdhsa_exception_fp_ieee_inexact 0
		.amdhsa_exception_int_div_zero 0
	.end_amdhsa_kernel
	.text
.Lfunc_end0:
	.size	bluestein_single_back_len40_dim1_dp_op_CI_CI, .Lfunc_end0-bluestein_single_back_len40_dim1_dp_op_CI_CI
                                        ; -- End function
	.section	.AMDGPU.csdata,"",@progbits
; Kernel info:
; codeLenInByte = 7016
; NumSgprs: 27
; NumVgprs: 151
; ScratchSize: 0
; MemoryBound: 0
; FloatMode: 240
; IeeeMode: 1
; LDSByteSize: 7680 bytes/workgroup (compile time only)
; SGPRBlocks: 3
; VGPRBlocks: 18
; NumSGPRsForWavesPerEU: 27
; NumVGPRsForWavesPerEU: 151
; Occupancy: 6
; WaveLimiterHint : 1
; COMPUTE_PGM_RSRC2:SCRATCH_EN: 0
; COMPUTE_PGM_RSRC2:USER_SGPR: 6
; COMPUTE_PGM_RSRC2:TRAP_HANDLER: 0
; COMPUTE_PGM_RSRC2:TGID_X_EN: 1
; COMPUTE_PGM_RSRC2:TGID_Y_EN: 0
; COMPUTE_PGM_RSRC2:TGID_Z_EN: 0
; COMPUTE_PGM_RSRC2:TIDIG_COMP_CNT: 0
	.text
	.p2alignl 6, 3214868480
	.fill 48, 4, 3214868480
	.type	__hip_cuid_f7c130c996f5cf0,@object ; @__hip_cuid_f7c130c996f5cf0
	.section	.bss,"aw",@nobits
	.globl	__hip_cuid_f7c130c996f5cf0
__hip_cuid_f7c130c996f5cf0:
	.byte	0                               ; 0x0
	.size	__hip_cuid_f7c130c996f5cf0, 1

	.ident	"AMD clang version 19.0.0git (https://github.com/RadeonOpenCompute/llvm-project roc-6.4.0 25133 c7fe45cf4b819c5991fe208aaa96edf142730f1d)"
	.section	".note.GNU-stack","",@progbits
	.addrsig
	.addrsig_sym __hip_cuid_f7c130c996f5cf0
	.amdgpu_metadata
---
amdhsa.kernels:
  - .args:
      - .actual_access:  read_only
        .address_space:  global
        .offset:         0
        .size:           8
        .value_kind:     global_buffer
      - .actual_access:  read_only
        .address_space:  global
        .offset:         8
        .size:           8
        .value_kind:     global_buffer
      - .actual_access:  read_only
        .address_space:  global
        .offset:         16
        .size:           8
        .value_kind:     global_buffer
      - .actual_access:  read_only
        .address_space:  global
        .offset:         24
        .size:           8
        .value_kind:     global_buffer
      - .actual_access:  read_only
        .address_space:  global
        .offset:         32
        .size:           8
        .value_kind:     global_buffer
      - .offset:         40
        .size:           8
        .value_kind:     by_value
      - .address_space:  global
        .offset:         48
        .size:           8
        .value_kind:     global_buffer
      - .address_space:  global
        .offset:         56
        .size:           8
        .value_kind:     global_buffer
      - .address_space:  global
        .offset:         64
        .size:           8
        .value_kind:     global_buffer
      - .address_space:  global
        .offset:         72
        .size:           8
        .value_kind:     global_buffer
      - .offset:         80
        .size:           4
        .value_kind:     by_value
      - .address_space:  global
        .offset:         88
        .size:           8
        .value_kind:     global_buffer
      - .address_space:  global
        .offset:         96
        .size:           8
        .value_kind:     global_buffer
    .group_segment_fixed_size: 7680
    .kernarg_segment_align: 8
    .kernarg_segment_size: 104
    .language:       OpenCL C
    .language_version:
      - 2
      - 0
    .max_flat_workgroup_size: 120
    .name:           bluestein_single_back_len40_dim1_dp_op_CI_CI
    .private_segment_fixed_size: 0
    .sgpr_count:     27
    .sgpr_spill_count: 0
    .symbol:         bluestein_single_back_len40_dim1_dp_op_CI_CI.kd
    .uniform_work_group_size: 1
    .uses_dynamic_stack: false
    .vgpr_count:     151
    .vgpr_spill_count: 0
    .wavefront_size: 32
    .workgroup_processor_mode: 1
amdhsa.target:   amdgcn-amd-amdhsa--gfx1030
amdhsa.version:
  - 1
  - 2
...

	.end_amdgpu_metadata
